;; amdgpu-corpus repo=ROCm/rocFFT kind=compiled arch=gfx906 opt=O3
	.text
	.amdgcn_target "amdgcn-amd-amdhsa--gfx906"
	.amdhsa_code_object_version 6
	.protected	fft_rtc_back_len375_factors_5_5_5_3_wgs_125_tpt_25_halfLds_dp_op_CI_CI_unitstride_sbrr_dirReg ; -- Begin function fft_rtc_back_len375_factors_5_5_5_3_wgs_125_tpt_25_halfLds_dp_op_CI_CI_unitstride_sbrr_dirReg
	.globl	fft_rtc_back_len375_factors_5_5_5_3_wgs_125_tpt_25_halfLds_dp_op_CI_CI_unitstride_sbrr_dirReg
	.p2align	8
	.type	fft_rtc_back_len375_factors_5_5_5_3_wgs_125_tpt_25_halfLds_dp_op_CI_CI_unitstride_sbrr_dirReg,@function
fft_rtc_back_len375_factors_5_5_5_3_wgs_125_tpt_25_halfLds_dp_op_CI_CI_unitstride_sbrr_dirReg: ; @fft_rtc_back_len375_factors_5_5_5_3_wgs_125_tpt_25_halfLds_dp_op_CI_CI_unitstride_sbrr_dirReg
; %bb.0:
	v_mul_u32_u24_e32 v1, 0xa3e, v0
	s_load_dwordx4 s[8:11], s[4:5], 0x58
	s_load_dwordx4 s[12:15], s[4:5], 0x0
	;; [unrolled: 1-line block ×3, first 2 shown]
	v_lshrrev_b32_e32 v1, 16, v1
	v_mad_u64_u32 v[64:65], s[0:1], s6, 5, v[1:2]
	v_mov_b32_e32 v4, 0
	v_mov_b32_e32 v1, 0
	s_waitcnt lgkmcnt(0)
	v_cmp_lt_u64_e64 s[0:1], s[14:15], 2
	v_mov_b32_e32 v5, 0
	v_mov_b32_e32 v65, v1
	;; [unrolled: 1-line block ×4, first 2 shown]
	s_and_b64 vcc, exec, s[0:1]
	v_mov_b32_e32 v60, v4
	v_mov_b32_e32 v63, v65
	s_cbranch_vccnz .LBB0_8
; %bb.1:
	s_load_dwordx2 s[0:1], s[4:5], 0x10
	s_add_u32 s2, s18, 8
	s_addc_u32 s3, s19, 0
	s_add_u32 s6, s16, 8
	v_mov_b32_e32 v4, 0
	s_addc_u32 s7, s17, 0
	v_mov_b32_e32 v5, 0
	s_waitcnt lgkmcnt(0)
	s_add_u32 s20, s0, 8
	v_mov_b32_e32 v61, v5
	v_mov_b32_e32 v6, v64
	s_addc_u32 s21, s1, 0
	s_mov_b64 s[22:23], 1
	v_mov_b32_e32 v60, v4
	v_mov_b32_e32 v7, v65
.LBB0_2:                                ; =>This Inner Loop Header: Depth=1
	s_load_dwordx2 s[24:25], s[20:21], 0x0
                                        ; implicit-def: $vgpr62_vgpr63
	s_waitcnt lgkmcnt(0)
	v_or_b32_e32 v2, s25, v7
	v_cmp_ne_u64_e32 vcc, 0, v[1:2]
	s_and_saveexec_b64 s[0:1], vcc
	s_xor_b64 s[26:27], exec, s[0:1]
	s_cbranch_execz .LBB0_4
; %bb.3:                                ;   in Loop: Header=BB0_2 Depth=1
	v_cvt_f32_u32_e32 v2, s24
	v_cvt_f32_u32_e32 v3, s25
	s_sub_u32 s0, 0, s24
	s_subb_u32 s1, 0, s25
	v_mac_f32_e32 v2, 0x4f800000, v3
	v_rcp_f32_e32 v2, v2
	v_mul_f32_e32 v2, 0x5f7ffffc, v2
	v_mul_f32_e32 v3, 0x2f800000, v2
	v_trunc_f32_e32 v3, v3
	v_mac_f32_e32 v2, 0xcf800000, v3
	v_cvt_u32_f32_e32 v3, v3
	v_cvt_u32_f32_e32 v2, v2
	v_mul_lo_u32 v8, s0, v3
	v_mul_hi_u32 v9, s0, v2
	v_mul_lo_u32 v11, s1, v2
	v_mul_lo_u32 v10, s0, v2
	v_add_u32_e32 v8, v9, v8
	v_add_u32_e32 v8, v8, v11
	v_mul_hi_u32 v9, v2, v10
	v_mul_lo_u32 v11, v2, v8
	v_mul_hi_u32 v13, v2, v8
	v_mul_hi_u32 v12, v3, v10
	v_mul_lo_u32 v10, v3, v10
	v_mul_hi_u32 v14, v3, v8
	v_add_co_u32_e32 v9, vcc, v9, v11
	v_addc_co_u32_e32 v11, vcc, 0, v13, vcc
	v_mul_lo_u32 v8, v3, v8
	v_add_co_u32_e32 v9, vcc, v9, v10
	v_addc_co_u32_e32 v9, vcc, v11, v12, vcc
	v_addc_co_u32_e32 v10, vcc, 0, v14, vcc
	v_add_co_u32_e32 v8, vcc, v9, v8
	v_addc_co_u32_e32 v9, vcc, 0, v10, vcc
	v_add_co_u32_e32 v2, vcc, v2, v8
	v_addc_co_u32_e32 v3, vcc, v3, v9, vcc
	v_mul_lo_u32 v8, s0, v3
	v_mul_hi_u32 v9, s0, v2
	v_mul_lo_u32 v10, s1, v2
	v_mul_lo_u32 v11, s0, v2
	v_add_u32_e32 v8, v9, v8
	v_add_u32_e32 v8, v8, v10
	v_mul_lo_u32 v12, v2, v8
	v_mul_hi_u32 v13, v2, v11
	v_mul_hi_u32 v14, v2, v8
	;; [unrolled: 1-line block ×3, first 2 shown]
	v_mul_lo_u32 v11, v3, v11
	v_mul_hi_u32 v9, v3, v8
	v_add_co_u32_e32 v12, vcc, v13, v12
	v_addc_co_u32_e32 v13, vcc, 0, v14, vcc
	v_mul_lo_u32 v8, v3, v8
	v_add_co_u32_e32 v11, vcc, v12, v11
	v_addc_co_u32_e32 v10, vcc, v13, v10, vcc
	v_addc_co_u32_e32 v9, vcc, 0, v9, vcc
	v_add_co_u32_e32 v8, vcc, v10, v8
	v_addc_co_u32_e32 v9, vcc, 0, v9, vcc
	v_add_co_u32_e32 v8, vcc, v2, v8
	v_addc_co_u32_e32 v9, vcc, v3, v9, vcc
	v_mad_u64_u32 v[2:3], s[0:1], v6, v9, 0
	v_mul_hi_u32 v10, v6, v8
	v_add_co_u32_e32 v10, vcc, v10, v2
	v_addc_co_u32_e32 v11, vcc, 0, v3, vcc
	v_mad_u64_u32 v[2:3], s[0:1], v7, v8, 0
	v_mad_u64_u32 v[8:9], s[0:1], v7, v9, 0
	v_add_co_u32_e32 v2, vcc, v10, v2
	v_addc_co_u32_e32 v2, vcc, v11, v3, vcc
	v_addc_co_u32_e32 v3, vcc, 0, v9, vcc
	v_add_co_u32_e32 v8, vcc, v2, v8
	v_addc_co_u32_e32 v9, vcc, 0, v3, vcc
	v_mul_lo_u32 v10, s25, v8
	v_mul_lo_u32 v11, s24, v9
	v_mad_u64_u32 v[2:3], s[0:1], s24, v8, 0
	v_add3_u32 v3, v3, v11, v10
	v_sub_u32_e32 v10, v7, v3
	v_mov_b32_e32 v11, s25
	v_sub_co_u32_e32 v2, vcc, v6, v2
	v_subb_co_u32_e64 v10, s[0:1], v10, v11, vcc
	v_subrev_co_u32_e64 v11, s[0:1], s24, v2
	v_subbrev_co_u32_e64 v10, s[0:1], 0, v10, s[0:1]
	v_cmp_le_u32_e64 s[0:1], s25, v10
	v_cndmask_b32_e64 v12, 0, -1, s[0:1]
	v_cmp_le_u32_e64 s[0:1], s24, v11
	v_cndmask_b32_e64 v11, 0, -1, s[0:1]
	v_cmp_eq_u32_e64 s[0:1], s25, v10
	v_cndmask_b32_e64 v10, v12, v11, s[0:1]
	v_add_co_u32_e64 v11, s[0:1], 2, v8
	v_addc_co_u32_e64 v12, s[0:1], 0, v9, s[0:1]
	v_add_co_u32_e64 v13, s[0:1], 1, v8
	v_addc_co_u32_e64 v14, s[0:1], 0, v9, s[0:1]
	v_subb_co_u32_e32 v3, vcc, v7, v3, vcc
	v_cmp_ne_u32_e64 s[0:1], 0, v10
	v_cmp_le_u32_e32 vcc, s25, v3
	v_cndmask_b32_e64 v10, v14, v12, s[0:1]
	v_cndmask_b32_e64 v12, 0, -1, vcc
	v_cmp_le_u32_e32 vcc, s24, v2
	v_cndmask_b32_e64 v2, 0, -1, vcc
	v_cmp_eq_u32_e32 vcc, s25, v3
	v_cndmask_b32_e32 v2, v12, v2, vcc
	v_cmp_ne_u32_e32 vcc, 0, v2
	v_cndmask_b32_e64 v2, v13, v11, s[0:1]
	v_cndmask_b32_e32 v63, v9, v10, vcc
	v_cndmask_b32_e32 v62, v8, v2, vcc
.LBB0_4:                                ;   in Loop: Header=BB0_2 Depth=1
	s_andn2_saveexec_b64 s[0:1], s[26:27]
	s_cbranch_execz .LBB0_6
; %bb.5:                                ;   in Loop: Header=BB0_2 Depth=1
	v_cvt_f32_u32_e32 v2, s24
	s_sub_i32 s26, 0, s24
	v_mov_b32_e32 v63, v1
	v_rcp_iflag_f32_e32 v2, v2
	v_mul_f32_e32 v2, 0x4f7ffffe, v2
	v_cvt_u32_f32_e32 v2, v2
	v_mul_lo_u32 v3, s26, v2
	v_mul_hi_u32 v3, v2, v3
	v_add_u32_e32 v2, v2, v3
	v_mul_hi_u32 v2, v6, v2
	v_mul_lo_u32 v3, v2, s24
	v_add_u32_e32 v8, 1, v2
	v_sub_u32_e32 v3, v6, v3
	v_subrev_u32_e32 v9, s24, v3
	v_cmp_le_u32_e32 vcc, s24, v3
	v_cndmask_b32_e32 v3, v3, v9, vcc
	v_cndmask_b32_e32 v2, v2, v8, vcc
	v_add_u32_e32 v8, 1, v2
	v_cmp_le_u32_e32 vcc, s24, v3
	v_cndmask_b32_e32 v62, v2, v8, vcc
.LBB0_6:                                ;   in Loop: Header=BB0_2 Depth=1
	s_or_b64 exec, exec, s[0:1]
	v_mul_lo_u32 v8, v63, s24
	v_mul_lo_u32 v9, v62, s25
	v_mad_u64_u32 v[2:3], s[0:1], v62, s24, 0
	s_load_dwordx2 s[0:1], s[6:7], 0x0
	s_load_dwordx2 s[24:25], s[2:3], 0x0
	v_add3_u32 v3, v3, v9, v8
	v_sub_co_u32_e32 v2, vcc, v6, v2
	v_subb_co_u32_e32 v3, vcc, v7, v3, vcc
	s_waitcnt lgkmcnt(0)
	v_mul_lo_u32 v6, s0, v3
	v_mul_lo_u32 v7, s1, v2
	v_mad_u64_u32 v[4:5], s[0:1], s0, v2, v[4:5]
	v_mul_lo_u32 v3, s24, v3
	v_mul_lo_u32 v8, s25, v2
	v_mad_u64_u32 v[60:61], s[0:1], s24, v2, v[60:61]
	s_add_u32 s22, s22, 1
	s_addc_u32 s23, s23, 0
	s_add_u32 s2, s2, 8
	v_add3_u32 v61, v8, v61, v3
	s_addc_u32 s3, s3, 0
	v_mov_b32_e32 v2, s14
	s_add_u32 s6, s6, 8
	v_mov_b32_e32 v3, s15
	s_addc_u32 s7, s7, 0
	v_cmp_ge_u64_e32 vcc, s[22:23], v[2:3]
	s_add_u32 s20, s20, 8
	v_add3_u32 v5, v7, v5, v6
	s_addc_u32 s21, s21, 0
	s_cbranch_vccnz .LBB0_8
; %bb.7:                                ;   in Loop: Header=BB0_2 Depth=1
	v_mov_b32_e32 v6, v62
	v_mov_b32_e32 v7, v63
	s_branch .LBB0_2
.LBB0_8:
	s_load_dwordx2 s[0:1], s[4:5], 0x28
	s_lshl_b64 s[4:5], s[14:15], 3
	s_add_u32 s18, s18, s4
	s_addc_u32 s19, s19, s5
                                        ; implicit-def: $vgpr65
	s_waitcnt lgkmcnt(0)
	v_cmp_gt_u64_e32 vcc, s[0:1], v[62:63]
	v_cmp_le_u64_e64 s[0:1], s[0:1], v[62:63]
	s_and_saveexec_b64 s[2:3], s[0:1]
	s_xor_b64 s[0:1], exec, s[2:3]
; %bb.9:
	s_mov_b32 s2, 0xa3d70a4
	v_mul_hi_u32 v1, v0, s2
                                        ; implicit-def: $vgpr4_vgpr5
	v_mul_u32_u24_e32 v1, 25, v1
	v_sub_u32_e32 v65, v0, v1
                                        ; implicit-def: $vgpr0
; %bb.10:
	s_or_saveexec_b64 s[2:3], s[0:1]
                                        ; implicit-def: $vgpr2_vgpr3
                                        ; implicit-def: $vgpr18_vgpr19
                                        ; implicit-def: $vgpr14_vgpr15
                                        ; implicit-def: $vgpr6_vgpr7
                                        ; implicit-def: $vgpr10_vgpr11
                                        ; implicit-def: $vgpr30_vgpr31
                                        ; implicit-def: $vgpr34_vgpr35
                                        ; implicit-def: $vgpr26_vgpr27
                                        ; implicit-def: $vgpr38_vgpr39
                                        ; implicit-def: $vgpr22_vgpr23
                                        ; implicit-def: $vgpr54_vgpr55
                                        ; implicit-def: $vgpr50_vgpr51
                                        ; implicit-def: $vgpr46_vgpr47
                                        ; implicit-def: $vgpr58_vgpr59
                                        ; implicit-def: $vgpr42_vgpr43
	s_xor_b64 exec, exec, s[2:3]
	s_cbranch_execz .LBB0_12
; %bb.11:
	s_add_u32 s0, s16, s4
	s_addc_u32 s1, s17, s5
	s_load_dwordx2 s[0:1], s[0:1], 0x0
	s_mov_b32 s4, 0xa3d70a4
	v_mul_hi_u32 v3, v0, s4
	s_waitcnt lgkmcnt(0)
	v_mul_lo_u32 v6, s1, v62
	v_mul_lo_u32 v7, s0, v63
	v_mad_u64_u32 v[1:2], s[0:1], s0, v62, 0
	v_mul_u32_u24_e32 v3, 25, v3
	v_sub_u32_e32 v65, v0, v3
	v_add3_u32 v2, v2, v7, v6
	v_lshlrev_b64 v[0:1], 4, v[1:2]
	v_mov_b32_e32 v2, s9
	v_add_co_u32_e64 v3, s[0:1], s8, v0
	v_addc_co_u32_e64 v2, s[0:1], v2, v1, s[0:1]
	v_lshlrev_b64 v[0:1], 4, v[4:5]
	v_add_co_u32_e64 v0, s[0:1], v3, v0
	v_addc_co_u32_e64 v1, s[0:1], v2, v1, s[0:1]
	v_lshlrev_b32_e32 v2, 4, v65
	v_add_co_u32_e64 v66, s[0:1], v0, v2
	v_addc_co_u32_e64 v67, s[0:1], 0, v1, s[0:1]
	s_movk_i32 s0, 0x1000
	v_add_co_u32_e64 v68, s[0:1], s0, v66
	v_addc_co_u32_e64 v69, s[0:1], 0, v67, s[0:1]
	global_load_dwordx4 v[40:43], v[66:67], off
	global_load_dwordx4 v[20:23], v[66:67], off offset:400
	global_load_dwordx4 v[44:47], v[66:67], off offset:2400
	;; [unrolled: 1-line block ×14, first 2 shown]
.LBB0_12:
	s_or_b64 exec, exec, s[2:3]
	s_waitcnt vmcnt(6)
	v_add_f64 v[66:67], v[48:49], v[44:45]
	s_waitcnt vmcnt(4)
	v_add_f64 v[68:69], v[58:59], -v[54:55]
	v_add_f64 v[78:79], v[52:53], v[56:57]
	s_mov_b32 s6, 0x134454ff
	s_mov_b32 s7, 0xbfee6f0e
	;; [unrolled: 1-line block ×4, first 2 shown]
	v_add_f64 v[70:71], v[46:47], -v[50:51]
	v_fma_f64 v[66:67], v[66:67], -0.5, v[40:41]
	v_add_f64 v[72:73], v[56:57], -v[44:45]
	v_add_f64 v[74:75], v[52:53], -v[48:49]
	v_add_f64 v[82:83], v[56:57], v[40:41]
	v_fma_f64 v[40:41], v[78:79], -0.5, v[40:41]
	s_mov_b32 s0, 0xcccccccd
	v_mul_hi_u32 v84, v64, s0
	s_mov_b32 s4, 0x4755a5e
	v_fma_f64 v[76:77], v[68:69], s[6:7], v[66:67]
	v_fma_f64 v[66:67], v[68:69], s[14:15], v[66:67]
	v_lshrrev_b32_e32 v84, 2, v84
	s_mov_b32 s5, 0xbfe2cf23
	s_mov_b32 s9, 0x3fe2cf23
	;; [unrolled: 1-line block ×3, first 2 shown]
	v_lshl_add_u32 v78, v84, 2, v84
	v_add_f64 v[80:81], v[44:45], -v[56:57]
	v_add_f64 v[72:73], v[74:75], v[72:73]
	v_fma_f64 v[74:75], v[70:71], s[4:5], v[76:77]
	v_fma_f64 v[66:67], v[70:71], s[8:9], v[66:67]
	v_add_f64 v[76:77], v[48:49], -v[52:53]
	v_sub_u32_e32 v64, v64, v78
	v_add_f64 v[78:79], v[50:51], v[46:47]
	v_add_f64 v[82:83], v[44:45], v[82:83]
	;; [unrolled: 1-line block ×4, first 2 shown]
	v_fma_f64 v[88:89], v[70:71], s[14:15], v[40:41]
	s_mov_b32 s2, 0x372fe950
	s_mov_b32 s3, 0x3fd3c6ef
	v_fma_f64 v[74:75], v[72:73], s[2:3], v[74:75]
	v_fma_f64 v[66:67], v[72:73], s[2:3], v[66:67]
	v_add_f64 v[72:73], v[76:77], v[80:81]
	v_fma_f64 v[40:41], v[70:71], s[6:7], v[40:41]
	v_add_f64 v[70:71], v[48:49], v[82:83]
	v_add_f64 v[76:77], v[46:47], v[84:85]
	v_fma_f64 v[78:79], v[78:79], -0.5, v[42:43]
	v_fma_f64 v[42:43], v[86:87], -0.5, v[42:43]
	v_fma_f64 v[80:81], v[68:69], s[4:5], v[88:89]
	v_add_f64 v[56:57], v[56:57], -v[52:53]
	v_add_f64 v[44:45], v[44:45], -v[48:49]
	s_waitcnt vmcnt(2)
	v_add_f64 v[48:49], v[32:33], v[24:25]
	v_add_f64 v[82:83], v[58:59], -v[46:47]
	v_add_f64 v[46:47], v[46:47], -v[58:59]
	v_add_f64 v[52:53], v[52:53], v[70:71]
	v_add_f64 v[58:59], v[50:51], v[76:77]
	v_fma_f64 v[70:71], v[72:73], s[2:3], v[80:81]
	v_fma_f64 v[40:41], v[68:69], s[8:9], v[40:41]
	v_add_f64 v[68:69], v[54:55], -v[50:51]
	v_fma_f64 v[76:77], v[56:57], s[14:15], v[78:79]
	v_fma_f64 v[78:79], v[56:57], s[6:7], v[78:79]
	;; [unrolled: 1-line block ×3, first 2 shown]
	v_fma_f64 v[48:49], v[48:49], -0.5, v[20:21]
	v_add_f64 v[84:85], v[38:39], -v[30:31]
	v_add_f64 v[50:51], v[50:51], -v[54:55]
	v_fma_f64 v[42:43], v[44:45], s[14:15], v[42:43]
	v_add_f64 v[54:55], v[54:55], v[58:59]
	v_fma_f64 v[40:41], v[72:73], s[2:3], v[40:41]
	v_fma_f64 v[58:59], v[44:45], s[8:9], v[76:77]
	v_add_f64 v[68:69], v[68:69], v[82:83]
	v_fma_f64 v[44:45], v[44:45], s[4:5], v[78:79]
	v_fma_f64 v[72:73], v[56:57], s[8:9], v[80:81]
	;; [unrolled: 1-line block ×3, first 2 shown]
	v_add_f64 v[78:79], v[26:27], -v[34:35]
	v_add_f64 v[80:81], v[36:37], -v[24:25]
	v_add_f64 v[82:83], v[28:29], -v[32:33]
	v_fma_f64 v[48:49], v[84:85], s[14:15], v[48:49]
	v_add_f64 v[86:87], v[28:29], v[36:37]
	v_add_f64 v[46:47], v[50:51], v[46:47]
	v_fma_f64 v[42:43], v[56:57], s[4:5], v[42:43]
	v_fma_f64 v[50:51], v[68:69], s[2:3], v[58:59]
	;; [unrolled: 1-line block ×4, first 2 shown]
	v_add_f64 v[58:59], v[82:83], v[80:81]
	v_fma_f64 v[48:49], v[78:79], s[8:9], v[48:49]
	v_fma_f64 v[68:69], v[86:87], -0.5, v[20:21]
	v_add_f64 v[20:21], v[36:37], v[20:21]
	v_fma_f64 v[76:77], v[46:47], s[2:3], v[42:43]
	v_add_f64 v[42:43], v[34:35], v[26:27]
	v_fma_f64 v[72:73], v[46:47], s[2:3], v[72:73]
	;; [unrolled: 2-line block ×3, first 2 shown]
	v_fma_f64 v[48:49], v[58:59], s[2:3], v[48:49]
	v_add_f64 v[44:45], v[24:25], -v[36:37]
	v_add_f64 v[58:59], v[32:33], -v[28:29]
	v_add_f64 v[20:21], v[24:25], v[20:21]
	v_fma_f64 v[82:83], v[78:79], s[14:15], v[68:69]
	v_fma_f64 v[68:69], v[78:79], s[6:7], v[68:69]
	v_add_f64 v[78:79], v[38:39], v[22:23]
	v_fma_f64 v[42:43], v[42:43], -0.5, v[22:23]
	v_add_f64 v[36:37], v[36:37], -v[28:29]
	v_fma_f64 v[22:23], v[46:47], -0.5, v[22:23]
	v_add_f64 v[44:45], v[58:59], v[44:45]
	v_add_f64 v[20:21], v[32:33], v[20:21]
	v_fma_f64 v[46:47], v[84:85], s[4:5], v[82:83]
	v_fma_f64 v[58:59], v[84:85], s[8:9], v[68:69]
	v_add_f64 v[68:69], v[26:27], v[78:79]
	v_add_f64 v[24:25], v[24:25], -v[32:33]
	v_add_f64 v[78:79], v[38:39], -v[26:27]
	;; [unrolled: 1-line block ×3, first 2 shown]
	v_fma_f64 v[38:39], v[36:37], s[14:15], v[42:43]
	v_add_f64 v[32:33], v[30:31], -v[34:35]
	v_fma_f64 v[42:43], v[36:37], s[6:7], v[42:43]
	v_add_f64 v[20:21], v[28:29], v[20:21]
	v_fma_f64 v[28:29], v[44:45], s[2:3], v[46:47]
	v_fma_f64 v[58:59], v[44:45], s[2:3], v[58:59]
	s_waitcnt vmcnt(1)
	v_add_f64 v[44:45], v[16:17], v[12:13]
	v_add_f64 v[46:47], v[34:35], v[68:69]
	v_fma_f64 v[68:69], v[24:25], s[6:7], v[22:23]
	v_add_f64 v[34:35], v[34:35], -v[30:31]
	v_fma_f64 v[22:23], v[24:25], s[14:15], v[22:23]
	v_fma_f64 v[38:39], v[24:25], s[8:9], v[38:39]
	v_add_f64 v[32:33], v[32:33], v[78:79]
	v_fma_f64 v[42:43], v[24:25], s[4:5], v[42:43]
	v_fma_f64 v[24:25], v[44:45], -0.5, v[8:9]
	s_waitcnt vmcnt(0)
	v_add_f64 v[44:45], v[6:7], -v[2:3]
	v_add_f64 v[30:31], v[30:31], v[46:47]
	v_add_f64 v[46:47], v[0:1], v[4:5]
	;; [unrolled: 1-line block ×3, first 2 shown]
	v_fma_f64 v[22:23], v[36:37], s[4:5], v[22:23]
	v_fma_f64 v[38:39], v[32:33], s[2:3], v[38:39]
	;; [unrolled: 1-line block ×4, first 2 shown]
	v_add_f64 v[68:69], v[4:5], -v[12:13]
	v_add_f64 v[78:79], v[0:1], -v[16:17]
	v_fma_f64 v[34:35], v[44:45], s[6:7], v[24:25]
	v_add_f64 v[36:37], v[14:15], -v[18:19]
	v_fma_f64 v[24:25], v[44:45], s[14:15], v[24:25]
	v_fma_f64 v[46:47], v[46:47], -0.5, v[8:9]
	v_fma_f64 v[84:85], v[26:27], s[2:3], v[22:23]
	v_add_f64 v[22:23], v[18:19], v[14:15]
	v_add_f64 v[8:9], v[4:5], v[8:9]
	v_fma_f64 v[82:83], v[26:27], s[2:3], v[42:43]
	v_add_f64 v[26:27], v[2:3], v[6:7]
	v_add_f64 v[42:43], v[78:79], v[68:69]
	v_add_f64 v[68:69], v[12:13], -v[4:5]
	v_add_f64 v[78:79], v[16:17], -v[0:1]
	v_add_f64 v[86:87], v[6:7], v[10:11]
	v_fma_f64 v[34:35], v[36:37], s[4:5], v[34:35]
	v_fma_f64 v[24:25], v[36:37], s[8:9], v[24:25]
	;; [unrolled: 1-line block ×4, first 2 shown]
	v_fma_f64 v[22:23], v[22:23], -0.5, v[10:11]
	v_add_f64 v[8:9], v[12:13], v[8:9]
	v_add_f64 v[4:5], v[4:5], -v[0:1]
	v_fma_f64 v[10:11], v[26:27], -0.5, v[10:11]
	v_add_f64 v[26:27], v[78:79], v[68:69]
	v_add_f64 v[46:47], v[6:7], -v[14:15]
	v_add_f64 v[68:69], v[14:15], v[86:87]
	v_add_f64 v[78:79], v[2:3], -v[18:19]
	v_add_f64 v[12:13], v[12:13], -v[16:17]
	v_fma_f64 v[86:87], v[44:45], s[4:5], v[88:89]
	v_fma_f64 v[36:37], v[44:45], s[8:9], v[36:37]
	v_add_f64 v[8:9], v[16:17], v[8:9]
	v_fma_f64 v[44:45], v[4:5], s[14:15], v[22:23]
	v_add_f64 v[6:7], v[14:15], -v[6:7]
	v_add_f64 v[14:15], v[18:19], v[68:69]
	v_add_f64 v[16:17], v[78:79], v[46:47]
	v_fma_f64 v[22:23], v[4:5], s[6:7], v[22:23]
	v_add_f64 v[18:19], v[18:19], -v[2:3]
	v_fma_f64 v[46:47], v[12:13], s[6:7], v[10:11]
	v_fma_f64 v[10:11], v[12:13], s[14:15], v[10:11]
	v_add_f64 v[0:1], v[0:1], v[8:9]
	v_fma_f64 v[8:9], v[42:43], s[2:3], v[34:35]
	v_fma_f64 v[34:35], v[12:13], s[8:9], v[44:45]
	v_mul_u32_u24_e32 v64, 0x177, v64
	v_fma_f64 v[12:13], v[12:13], s[4:5], v[22:23]
	v_add_f64 v[6:7], v[18:19], v[6:7]
	v_fma_f64 v[22:23], v[4:5], s[8:9], v[46:47]
	v_fma_f64 v[4:5], v[4:5], s[4:5], v[10:11]
	v_lshlrev_b32_e32 v46, 3, v64
	v_fma_f64 v[10:11], v[42:43], s[2:3], v[24:25]
	v_fma_f64 v[18:19], v[26:27], s[2:3], v[86:87]
	;; [unrolled: 1-line block ×3, first 2 shown]
	v_add_u32_e32 v44, 0, v46
	v_mad_u32_u24 v43, v65, 40, v44
	s_load_dwordx2 s[16:17], s[18:19], 0x0
	v_add_f64 v[36:37], v[2:3], v[14:15]
	v_fma_f64 v[34:35], v[16:17], s[2:3], v[34:35]
	ds_write2_b64 v43, v[52:53], v[74:75] offset1:1
	ds_write2_b64 v43, v[70:71], v[40:41] offset0:2 offset1:3
	ds_write2_b64 v43, v[20:21], v[80:81] offset0:125 offset1:126
	ds_write2_b64 v43, v[28:29], v[58:59] offset0:127 offset1:128
	ds_write2_b64 v43, v[66:67], v[48:49] offset0:4 offset1:129
	ds_write2_b64 v43, v[0:1], v[8:9] offset0:250 offset1:251
	ds_write2_b64 v43, v[18:19], v[24:25] offset0:252 offset1:253
	ds_write_b64 v43, v[10:11] offset:2032
	v_lshlrev_b32_e32 v0, 3, v65
	v_fma_f64 v[78:79], v[6:7], s[2:3], v[22:23]
	v_fma_f64 v[86:87], v[6:7], s[2:3], v[4:5]
	v_add3_u32 v41, 0, v0, v46
	s_movk_i32 s0, 0xcd
	v_fma_f64 v[68:69], v[16:17], s[2:3], v[12:13]
	v_add_u32_e32 v40, v44, v0
	v_add_u32_e32 v42, 0x800, v41
	v_mul_lo_u16_sdwa v28, v65, s0 dst_sel:DWORD dst_unused:UNUSED_PAD src0_sel:BYTE_0 src1_sel:DWORD
	s_waitcnt lgkmcnt(0)
	s_barrier
	ds_read_b64 v[58:59], v40
	ds_read2_b64 v[4:7], v41 offset0:75 offset1:100
	ds_read2_b64 v[8:11], v41 offset0:125 offset1:150
	;; [unrolled: 1-line block ×7, first 2 shown]
	s_waitcnt lgkmcnt(0)
	s_barrier
	ds_write2_b64 v43, v[54:55], v[50:51] offset1:1
	ds_write2_b64 v43, v[72:73], v[76:77] offset0:2 offset1:3
	ds_write2_b64 v43, v[30:31], v[38:39] offset0:125 offset1:126
	;; [unrolled: 1-line block ×6, first 2 shown]
	ds_write_b64 v43, v[68:69] offset:2032
	v_lshrrev_b16_e32 v51, 10, v28
	v_mul_lo_u16_e32 v28, 5, v51
	v_sub_u16_e32 v52, v65, v28
	v_mov_b32_e32 v57, 6
	v_lshlrev_b32_sdwa v64, v57, v52 dst_sel:DWORD dst_unused:UNUSED_PAD src0_sel:DWORD src1_sel:BYTE_0
	s_waitcnt lgkmcnt(0)
	s_barrier
	global_load_dwordx4 v[28:31], v64, s[12:13]
	v_add_u32_e32 v43, 25, v65
	v_mul_lo_u16_sdwa v32, v43, s0 dst_sel:DWORD dst_unused:UNUSED_PAD src0_sel:BYTE_0 src1_sel:DWORD
	v_lshrrev_b16_e32 v47, 10, v32
	v_mul_lo_u16_e32 v32, 5, v47
	v_sub_u16_e32 v48, v43, v32
	v_lshlrev_b32_sdwa v98, v57, v48 dst_sel:DWORD dst_unused:UNUSED_PAD src0_sel:DWORD src1_sel:BYTE_0
	global_load_dwordx4 v[32:35], v98, s[12:13]
	global_load_dwordx4 v[36:39], v64, s[12:13] offset:32
	global_load_dwordx4 v[53:56], v98, s[12:13] offset:32
	;; [unrolled: 1-line block ×3, first 2 shown]
	v_add_u32_e32 v45, 50, v65
	v_mul_lo_u16_sdwa v49, v45, s0 dst_sel:DWORD dst_unused:UNUSED_PAD src0_sel:BYTE_0 src1_sel:DWORD
	v_lshrrev_b16_e32 v49, 10, v49
	v_mul_lo_u16_e32 v50, 5, v49
	v_sub_u16_e32 v50, v45, v50
	v_lshlrev_b32_sdwa v57, v57, v50 dst_sel:DWORD dst_unused:UNUSED_PAD src0_sel:DWORD src1_sel:BYTE_0
	global_load_dwordx4 v[70:73], v57, s[12:13]
	global_load_dwordx4 v[74:77], v98, s[12:13] offset:16
	global_load_dwordx4 v[78:81], v57, s[12:13] offset:16
	;; [unrolled: 1-line block ×6, first 2 shown]
	ds_read2_b64 v[98:101], v41 offset0:75 offset1:100
	ds_read2_b64 v[102:105], v41 offset0:225 offset1:250
	s_movk_i32 s0, 0xc8
	v_mad_u32_u24 v51, v51, s0, 0
	s_waitcnt vmcnt(11) lgkmcnt(1)
	v_mul_f64 v[106:107], v[98:99], v[30:31]
	v_mul_f64 v[30:31], v[4:5], v[30:31]
	s_waitcnt vmcnt(10)
	v_mul_f64 v[108:109], v[100:101], v[34:35]
	s_waitcnt vmcnt(8) lgkmcnt(0)
	v_mul_f64 v[110:111], v[104:105], v[55:56]
	v_mul_f64 v[55:56], v[14:15], v[55:56]
	v_fma_f64 v[106:107], v[4:5], v[28:29], v[106:107]
	v_mul_f64 v[4:5], v[6:7], v[34:35]
	v_fma_f64 v[34:35], v[98:99], v[28:29], -v[30:31]
	v_mul_f64 v[98:99], v[102:103], v[38:39]
	ds_read2_b64 v[28:31], v41 offset0:125 offset1:150
	v_mul_f64 v[38:39], v[12:13], v[38:39]
	v_fma_f64 v[108:109], v[6:7], v[32:33], v[108:109]
	v_fma_f64 v[32:33], v[100:101], v[32:33], -v[4:5]
	s_waitcnt vmcnt(7) lgkmcnt(0)
	v_mul_f64 v[100:101], v[30:31], v[68:69]
	v_fma_f64 v[98:99], v[12:13], v[36:37], v[98:99]
	v_mul_f64 v[12:13], v[10:11], v[68:69]
	v_fma_f64 v[68:69], v[14:15], v[53:54], v[110:111]
	s_waitcnt vmcnt(6)
	v_mul_f64 v[14:15], v[28:29], v[72:73]
	v_fma_f64 v[36:37], v[102:103], v[36:37], -v[38:39]
	ds_read2_b64 v[4:7], v41 offset0:175 offset1:200
	v_fma_f64 v[102:103], v[104:105], v[53:54], -v[55:56]
	v_fma_f64 v[53:54], v[10:11], v[66:67], v[100:101]
	v_mul_f64 v[38:39], v[8:9], v[72:73]
	v_fma_f64 v[30:31], v[30:31], v[66:67], -v[12:13]
	s_waitcnt vmcnt(5)
	v_mul_f64 v[66:67], v[20:21], v[76:77]
	ds_read2_b64 v[10:13], v42 offset0:19 offset1:44
	s_waitcnt lgkmcnt(1)
	v_mul_f64 v[55:56], v[4:5], v[76:77]
	v_fma_f64 v[76:77], v[8:9], v[70:71], v[14:15]
	s_waitcnt vmcnt(4)
	v_mul_f64 v[8:9], v[22:23], v[80:81]
	v_mul_f64 v[72:73], v[6:7], v[80:81]
	s_waitcnt vmcnt(3) lgkmcnt(0)
	v_mul_f64 v[14:15], v[12:13], v[84:85]
	v_fma_f64 v[70:71], v[28:29], v[70:71], -v[38:39]
	v_fma_f64 v[66:67], v[4:5], v[74:75], -v[66:67]
	v_mul_f64 v[4:5], v[18:19], v[84:85]
	v_fma_f64 v[28:29], v[20:21], v[74:75], v[55:56]
	v_add_f64 v[55:56], v[53:54], v[98:99]
	v_fma_f64 v[74:75], v[6:7], v[78:79], -v[8:9]
	s_waitcnt vmcnt(2)
	v_mul_f64 v[6:7], v[10:11], v[88:89]
	v_fma_f64 v[14:15], v[18:19], v[82:83], v[14:15]
	v_mul_f64 v[8:9], v[16:17], v[88:89]
	v_fma_f64 v[72:73], v[22:23], v[78:79], v[72:73]
	v_fma_f64 v[12:13], v[12:13], v[82:83], -v[4:5]
	ds_read2_b64 v[20:23], v42 offset0:69 offset1:94
	s_waitcnt vmcnt(1)
	v_mul_f64 v[38:39], v[24:25], v[92:93]
	v_fma_f64 v[78:79], v[16:17], v[86:87], v[6:7]
	v_add_f64 v[6:7], v[106:107], v[14:15]
	s_waitcnt lgkmcnt(0)
	v_mul_f64 v[18:19], v[20:21], v[92:93]
	s_waitcnt vmcnt(0)
	v_mul_f64 v[4:5], v[22:23], v[96:97]
	v_fma_f64 v[80:81], v[10:11], v[86:87], -v[8:9]
	v_fma_f64 v[8:9], v[55:56], -0.5, v[58:59]
	v_add_f64 v[10:11], v[34:35], -v[12:13]
	v_add_f64 v[16:17], v[30:31], -v[36:37]
	v_fma_f64 v[20:21], v[20:21], v[90:91], -v[38:39]
	v_fma_f64 v[6:7], v[6:7], -0.5, v[58:59]
	v_fma_f64 v[24:25], v[24:25], v[90:91], v[18:19]
	v_fma_f64 v[82:83], v[26:27], v[94:95], v[4:5]
	v_mul_f64 v[4:5], v[26:27], v[96:97]
	v_add_f64 v[18:19], v[106:107], -v[53:54]
	v_add_f64 v[38:39], v[14:15], -v[98:99]
	v_fma_f64 v[55:56], v[10:11], s[6:7], v[8:9]
	v_add_f64 v[26:27], v[58:59], v[106:107]
	v_fma_f64 v[8:9], v[10:11], s[14:15], v[8:9]
	v_add_f64 v[57:58], v[53:54], -v[106:107]
	v_add_f64 v[84:85], v[98:99], -v[14:15]
	v_fma_f64 v[86:87], v[16:17], s[14:15], v[6:7]
	v_fma_f64 v[6:7], v[16:17], s[6:7], v[6:7]
	v_fma_f64 v[88:89], v[22:23], v[94:95], -v[4:5]
	v_add_f64 v[4:5], v[18:19], v[38:39]
	v_fma_f64 v[18:19], v[16:17], s[4:5], v[55:56]
	ds_read_b64 v[55:56], v40
	v_add_f64 v[26:27], v[26:27], v[53:54]
	v_fma_f64 v[8:9], v[16:17], s[8:9], v[8:9]
	v_add_f64 v[16:17], v[57:58], v[84:85]
	v_fma_f64 v[22:23], v[10:11], s[4:5], v[86:87]
	v_fma_f64 v[10:11], v[10:11], s[8:9], v[6:7]
	v_add_f64 v[57:58], v[30:31], v[36:37]
	v_fma_f64 v[38:39], v[4:5], s[2:3], v[18:19]
	v_add_f64 v[18:19], v[34:35], v[12:13]
	s_waitcnt lgkmcnt(0)
	v_add_f64 v[84:85], v[55:56], v[34:35]
	v_add_f64 v[26:27], v[26:27], v[98:99]
	v_fma_f64 v[4:5], v[4:5], s[2:3], v[8:9]
	v_fma_f64 v[6:7], v[16:17], s[2:3], v[22:23]
	;; [unrolled: 1-line block ×3, first 2 shown]
	v_add_f64 v[16:17], v[106:107], -v[14:15]
	v_fma_f64 v[10:11], v[57:58], -0.5, v[55:56]
	v_add_f64 v[22:23], v[53:54], -v[98:99]
	v_fma_f64 v[18:19], v[18:19], -0.5, v[55:56]
	v_add_f64 v[55:56], v[84:85], v[30:31]
	v_add_f64 v[53:54], v[34:35], -v[30:31]
	v_add_f64 v[57:58], v[12:13], -v[36:37]
	v_add_f64 v[84:85], v[26:27], v[14:15]
	v_add_f64 v[14:15], v[30:31], -v[34:35]
	v_fma_f64 v[26:27], v[16:17], s[14:15], v[10:11]
	v_fma_f64 v[10:11], v[16:17], s[6:7], v[10:11]
	;; [unrolled: 1-line block ×3, first 2 shown]
	v_add_f64 v[34:35], v[36:37], -v[12:13]
	v_add_f64 v[36:37], v[55:56], v[36:37]
	v_add_f64 v[55:56], v[28:29], v[68:69]
	v_add_f64 v[53:54], v[53:54], v[57:58]
	v_fma_f64 v[18:19], v[22:23], s[14:15], v[18:19]
	v_fma_f64 v[26:27], v[22:23], s[8:9], v[26:27]
	;; [unrolled: 1-line block ×4, first 2 shown]
	v_add_f64 v[34:35], v[14:15], v[34:35]
	v_add_f64 v[10:11], v[36:37], v[12:13]
	v_fma_f64 v[36:37], v[55:56], -0.5, v[0:1]
	v_add_f64 v[57:58], v[32:33], -v[20:21]
	v_add_f64 v[55:56], v[108:109], v[24:25]
	v_fma_f64 v[18:19], v[16:17], s[4:5], v[18:19]
	v_fma_f64 v[12:13], v[53:54], s[2:3], v[26:27]
	v_add_f64 v[26:27], v[108:109], -v[28:29]
	v_add_f64 v[86:87], v[24:25], -v[68:69]
	v_fma_f64 v[14:15], v[53:54], s[2:3], v[22:23]
	v_fma_f64 v[16:17], v[34:35], s[2:3], v[30:31]
	;; [unrolled: 1-line block ×3, first 2 shown]
	v_add_f64 v[30:31], v[66:67], -v[102:103]
	v_fma_f64 v[53:54], v[55:56], -0.5, v[0:1]
	v_fma_f64 v[36:37], v[57:58], s[14:15], v[36:37]
	v_fma_f64 v[18:19], v[34:35], s[2:3], v[18:19]
	v_add_f64 v[26:27], v[26:27], v[86:87]
	v_add_f64 v[0:1], v[0:1], v[108:109]
	v_add_f64 v[34:35], v[28:29], -v[108:109]
	v_add_f64 v[86:87], v[68:69], -v[24:25]
	v_add_f64 v[92:93], v[66:67], v[102:103]
	v_fma_f64 v[22:23], v[30:31], s[4:5], v[22:23]
	v_fma_f64 v[90:91], v[30:31], s[14:15], v[53:54]
	;; [unrolled: 1-line block ×4, first 2 shown]
	ds_read2_b64 v[53:56], v41 offset0:25 offset1:50
	v_add_f64 v[0:1], v[0:1], v[28:29]
	v_add_f64 v[86:87], v[34:35], v[86:87]
	;; [unrolled: 1-line block ×3, first 2 shown]
	v_add_f64 v[94:95], v[108:109], -v[24:25]
	s_waitcnt lgkmcnt(0)
	v_add_f64 v[96:97], v[53:54], v[32:33]
	v_fma_f64 v[92:93], v[92:93], -0.5, v[53:54]
	v_fma_f64 v[90:91], v[57:58], s[4:5], v[90:91]
	v_fma_f64 v[57:58], v[57:58], s[8:9], v[30:31]
	v_add_f64 v[0:1], v[0:1], v[68:69]
	v_add_f64 v[28:29], v[28:29], -v[68:69]
	v_fma_f64 v[30:31], v[34:35], -0.5, v[53:54]
	v_add_f64 v[34:35], v[32:33], -v[66:67]
	v_add_f64 v[53:54], v[20:21], -v[102:103]
	v_add_f64 v[68:69], v[96:97], v[66:67]
	v_fma_f64 v[96:97], v[94:95], s[14:15], v[92:93]
	v_fma_f64 v[92:93], v[94:95], s[6:7], v[92:93]
	v_add_f64 v[32:33], v[66:67], -v[32:33]
	v_add_f64 v[66:67], v[102:103], -v[20:21]
	v_fma_f64 v[98:99], v[28:29], s[6:7], v[30:31]
	v_fma_f64 v[30:31], v[28:29], s[14:15], v[30:31]
	v_add_f64 v[0:1], v[0:1], v[24:25]
	v_add_f64 v[24:25], v[34:35], v[53:54]
	v_fma_f64 v[53:54], v[28:29], s[8:9], v[96:97]
	v_add_f64 v[68:69], v[68:69], v[102:103]
	v_add_f64 v[96:97], v[72:73], v[78:79]
	v_fma_f64 v[28:29], v[28:29], s[4:5], v[92:93]
	v_add_f64 v[66:67], v[32:33], v[66:67]
	v_fma_f64 v[92:93], v[94:95], s[8:9], v[98:99]
	v_fma_f64 v[94:95], v[94:95], s[4:5], v[30:31]
	;; [unrolled: 1-line block ×5, first 2 shown]
	v_add_f64 v[20:21], v[68:69], v[20:21]
	v_add_f64 v[57:58], v[76:77], v[82:83]
	v_fma_f64 v[22:23], v[24:25], s[2:3], v[53:54]
	v_fma_f64 v[53:54], v[96:97], -0.5, v[2:3]
	v_add_f64 v[68:69], v[70:71], -v[88:89]
	v_fma_f64 v[34:35], v[86:87], s[2:3], v[90:91]
	v_fma_f64 v[24:25], v[24:25], s[2:3], v[28:29]
	v_add_f64 v[86:87], v[76:77], -v[72:73]
	v_add_f64 v[90:91], v[82:83], -v[78:79]
	v_fma_f64 v[26:27], v[66:67], s[2:3], v[92:93]
	v_fma_f64 v[57:58], v[57:58], -0.5, v[2:3]
	v_add_f64 v[92:93], v[74:75], -v[80:81]
	v_fma_f64 v[28:29], v[66:67], s[2:3], v[94:95]
	v_fma_f64 v[66:67], v[68:69], s[6:7], v[53:54]
	;; [unrolled: 1-line block ×3, first 2 shown]
	v_add_f64 v[2:3], v[2:3], v[76:77]
	v_add_f64 v[86:87], v[86:87], v[90:91]
	v_add_f64 v[90:91], v[72:73], -v[76:77]
	v_add_f64 v[94:95], v[78:79], -v[82:83]
	v_fma_f64 v[96:97], v[92:93], s[14:15], v[57:58]
	v_add_f64 v[98:99], v[74:75], v[80:81]
	v_fma_f64 v[66:67], v[92:93], s[4:5], v[66:67]
	v_fma_f64 v[53:54], v[92:93], s[8:9], v[53:54]
	;; [unrolled: 1-line block ×3, first 2 shown]
	v_add_f64 v[92:93], v[70:71], v[88:89]
	v_add_f64 v[2:3], v[2:3], v[72:73]
	;; [unrolled: 1-line block ×3, first 2 shown]
	v_fma_f64 v[94:95], v[68:69], s[4:5], v[96:97]
	v_fma_f64 v[96:97], v[98:99], -0.5, v[55:56]
	v_add_f64 v[98:99], v[55:56], v[70:71]
	v_add_f64 v[76:77], v[76:77], -v[82:83]
	v_fma_f64 v[57:58], v[68:69], s[8:9], v[57:58]
	v_fma_f64 v[55:56], v[92:93], -0.5, v[55:56]
	v_add_f64 v[68:69], v[72:73], -v[78:79]
	v_add_f64 v[2:3], v[2:3], v[78:79]
	v_add_f64 v[72:73], v[70:71], -v[74:75]
	v_add_f64 v[78:79], v[88:89], -v[80:81]
	v_add_f64 v[92:93], v[98:99], v[74:75]
	v_fma_f64 v[98:99], v[76:77], s[14:15], v[96:97]
	v_fma_f64 v[96:97], v[76:77], s[6:7], v[96:97]
	v_add_f64 v[70:71], v[74:75], -v[70:71]
	v_add_f64 v[74:75], v[80:81], -v[88:89]
	v_fma_f64 v[100:101], v[68:69], s[6:7], v[55:56]
	v_fma_f64 v[55:56], v[68:69], s[14:15], v[55:56]
	v_add_f64 v[72:73], v[72:73], v[78:79]
	v_add_f64 v[80:81], v[92:93], v[80:81]
	v_fma_f64 v[78:79], v[68:69], s[8:9], v[98:99]
	v_fma_f64 v[68:69], v[68:69], s[4:5], v[96:97]
	v_add_f64 v[2:3], v[2:3], v[82:83]
	v_add_f64 v[70:71], v[70:71], v[74:75]
	v_fma_f64 v[74:75], v[76:77], s[8:9], v[100:101]
	v_fma_f64 v[55:56], v[76:77], s[4:5], v[55:56]
	;; [unrolled: 1-line block ×10, first 2 shown]
	v_mov_b32_e32 v55, 3
	v_lshlrev_b32_sdwa v52, v55, v52 dst_sel:DWORD dst_unused:UNUSED_PAD src0_sel:DWORD src1_sel:BYTE_0
	v_add3_u32 v59, v51, v52, v46
	s_barrier
	ds_write2_b64 v59, v[84:85], v[38:39] offset1:5
	ds_write2_b64 v59, v[6:7], v[8:9] offset0:10 offset1:15
	ds_write_b64 v59, v[4:5] offset:160
	v_mad_u32_u24 v4, v47, s0, 0
	v_lshlrev_b32_sdwa v5, v55, v48 dst_sel:DWORD dst_unused:UNUSED_PAD src0_sel:DWORD src1_sel:BYTE_0
	v_add3_u32 v8, v4, v5, v46
	v_add_f64 v[80:81], v[80:81], v[88:89]
	ds_write2_b64 v8, v[0:1], v[32:33] offset1:5
	ds_write2_b64 v8, v[34:35], v[36:37] offset0:10 offset1:15
	ds_write_b64 v8, v[30:31] offset:160
	v_mad_u32_u24 v0, v49, s0, 0
	v_lshlrev_b32_sdwa v1, v55, v50 dst_sel:DWORD dst_unused:UNUSED_PAD src0_sel:DWORD src1_sel:BYTE_0
	v_add3_u32 v9, v0, v1, v46
	ds_write2_b64 v9, v[2:3], v[66:67] offset1:5
	ds_write2_b64 v9, v[76:77], v[57:58] offset0:10 offset1:15
	ds_write_b64 v9, v[53:54] offset:160
	s_waitcnt lgkmcnt(0)
	s_barrier
	ds_read_b64 v[38:39], v40
	ds_read2_b64 v[4:7], v41 offset0:75 offset1:100
	ds_read2_b64 v[30:33], v41 offset0:125 offset1:150
	;; [unrolled: 1-line block ×7, first 2 shown]
	s_waitcnt lgkmcnt(0)
	s_barrier
	ds_write2_b64 v59, v[10:11], v[12:13] offset1:5
	ds_write2_b64 v59, v[16:17], v[18:19] offset0:10 offset1:15
	ds_write_b64 v59, v[14:15] offset:160
	ds_write2_b64 v8, v[20:21], v[22:23] offset1:5
	ds_write2_b64 v8, v[26:27], v[28:29] offset0:10 offset1:15
	ds_write_b64 v8, v[24:25] offset:160
	;; [unrolled: 3-line block ×3, first 2 shown]
	v_lshlrev_b32_e32 v28, 2, v65
	v_mov_b32_e32 v29, 0
	v_lshlrev_b64 v[8:9], 4, v[28:29]
	v_mov_b32_e32 v10, s13
	v_add_co_u32_e64 v58, s[0:1], s12, v8
	v_addc_co_u32_e64 v59, s[0:1], v10, v9, s[0:1]
	s_waitcnt lgkmcnt(0)
	s_barrier
	global_load_dwordx4 v[9:12], v[58:59], off offset:320
	global_load_dwordx4 v[13:16], v[58:59], off offset:352
	;; [unrolled: 1-line block ×3, first 2 shown]
	v_mov_b32_e32 v8, 41
	v_mul_lo_u16_sdwa v8, v45, v8 dst_sel:DWORD dst_unused:UNUSED_PAD src0_sel:BYTE_0 src1_sel:DWORD
	v_lshrrev_b16_e32 v8, 10, v8
	v_mul_lo_u16_e32 v8, 25, v8
	v_sub_u16_e32 v8, v45, v8
	v_and_b32_e32 v8, 0xff, v8
	v_lshlrev_b32_e32 v64, 6, v8
	global_load_dwordx4 v[21:24], v64, s[12:13] offset:320
	global_load_dwordx4 v[25:28], v[58:59], off offset:368
	global_load_dwordx4 v[66:69], v64, s[12:13] offset:336
	global_load_dwordx4 v[70:73], v64, s[12:13] offset:352
	;; [unrolled: 1-line block ×3, first 2 shown]
	ds_read2_b64 v[78:81], v41 offset0:75 offset1:100
	ds_read2_b64 v[82:85], v41 offset0:225 offset1:250
	s_waitcnt vmcnt(7) lgkmcnt(1)
	v_mul_f64 v[58:59], v[78:79], v[11:12]
	v_mul_f64 v[86:87], v[4:5], v[11:12]
	;; [unrolled: 1-line block ×4, first 2 shown]
	s_waitcnt vmcnt(6) lgkmcnt(0)
	v_mul_f64 v[90:91], v[84:85], v[15:16]
	s_waitcnt vmcnt(5)
	v_mul_f64 v[94:95], v[32:33], v[19:20]
	v_fma_f64 v[58:59], v[4:5], v[9:10], v[58:59]
	v_mul_f64 v[4:5], v[82:83], v[15:16]
	v_fma_f64 v[78:79], v[78:79], v[9:10], -v[86:87]
	v_fma_f64 v[86:87], v[6:7], v[9:10], v[88:89]
	v_fma_f64 v[80:81], v[80:81], v[9:10], -v[11:12]
	ds_read2_b64 v[9:12], v41 offset0:125 offset1:150
	v_mul_f64 v[6:7], v[34:35], v[15:16]
	v_mul_f64 v[15:16], v[36:37], v[15:16]
	v_fma_f64 v[90:91], v[36:37], v[13:14], v[90:91]
	v_fma_f64 v[88:89], v[34:35], v[13:14], v[4:5]
	s_waitcnt lgkmcnt(0)
	v_mul_f64 v[4:5], v[11:12], v[19:20]
	s_waitcnt vmcnt(4)
	v_mul_f64 v[92:93], v[9:10], v[23:24]
	v_mul_f64 v[23:24], v[30:31], v[23:24]
	ds_read2_b64 v[34:37], v41 offset0:175 offset1:200
	v_fma_f64 v[82:83], v[82:83], v[13:14], -v[6:7]
	v_fma_f64 v[84:85], v[84:85], v[13:14], -v[15:16]
	v_mul_f64 v[15:16], v[50:51], v[19:20]
	s_waitcnt lgkmcnt(0)
	v_mul_f64 v[13:14], v[34:35], v[19:20]
	v_fma_f64 v[19:20], v[32:33], v[17:18], v[4:5]
	v_fma_f64 v[4:5], v[9:10], v[21:22], -v[23:24]
	s_waitcnt vmcnt(3)
	v_mul_f64 v[23:24], v[48:49], v[27:28]
	v_fma_f64 v[6:7], v[30:31], v[21:22], v[92:93]
	v_fma_f64 v[21:22], v[11:12], v[17:18], -v[94:95]
	ds_read2_b64 v[9:12], v42 offset0:19 offset1:44
	s_waitcnt vmcnt(2)
	v_mul_f64 v[32:33], v[36:37], v[68:69]
	v_fma_f64 v[30:31], v[50:51], v[17:18], v[13:14]
	v_fma_f64 v[17:18], v[34:35], v[17:18], -v[15:16]
	v_mul_f64 v[34:35], v[52:53], v[68:69]
	s_waitcnt lgkmcnt(0)
	v_mul_f64 v[50:51], v[11:12], v[27:28]
	v_add_f64 v[68:69], v[19:20], v[88:89]
	v_fma_f64 v[11:12], v[11:12], v[25:26], -v[23:24]
	ds_read2_b64 v[13:16], v42 offset0:69 offset1:94
	s_waitcnt vmcnt(1)
	v_mul_f64 v[23:24], v[9:10], v[72:73]
	v_mul_f64 v[72:73], v[46:47], v[72:73]
	v_fma_f64 v[32:33], v[52:53], v[66:67], v[32:33]
	v_fma_f64 v[34:35], v[36:37], v[66:67], -v[34:35]
	s_waitcnt lgkmcnt(0)
	v_mul_f64 v[36:37], v[13:14], v[27:28]
	v_fma_f64 v[48:49], v[48:49], v[25:26], v[50:51]
	v_fma_f64 v[50:51], v[68:69], -0.5, v[38:39]
	v_add_f64 v[52:53], v[78:79], -v[11:12]
	v_fma_f64 v[23:24], v[46:47], v[70:71], v[23:24]
	v_fma_f64 v[46:47], v[9:10], v[70:71], -v[72:73]
	v_mul_f64 v[9:10], v[54:55], v[27:28]
	s_waitcnt vmcnt(0)
	v_mul_f64 v[27:28], v[15:16], v[76:77]
	v_fma_f64 v[36:37], v[54:55], v[25:26], v[36:37]
	v_add_f64 v[54:55], v[38:39], v[58:59]
	v_add_f64 v[66:67], v[58:59], v[48:49]
	v_fma_f64 v[68:69], v[52:53], s[6:7], v[50:51]
	v_add_f64 v[70:71], v[21:22], -v[82:83]
	v_add_f64 v[72:73], v[58:59], -v[19:20]
	;; [unrolled: 1-line block ×3, first 2 shown]
	v_fma_f64 v[50:51], v[52:53], s[14:15], v[50:51]
	v_fma_f64 v[13:14], v[13:14], v[25:26], -v[9:10]
	v_add_f64 v[54:55], v[54:55], v[19:20]
	v_fma_f64 v[38:39], v[66:67], -0.5, v[38:39]
	v_fma_f64 v[25:26], v[56:57], v[74:75], v[27:28]
	v_fma_f64 v[9:10], v[70:71], s[4:5], v[68:69]
	v_mul_f64 v[76:77], v[56:57], v[76:77]
	v_add_f64 v[27:28], v[72:73], v[92:93]
	v_fma_f64 v[50:51], v[70:71], s[8:9], v[50:51]
	v_add_f64 v[72:73], v[78:79], v[11:12]
	v_add_f64 v[54:55], v[54:55], v[88:89]
	v_fma_f64 v[56:57], v[70:71], s[14:15], v[38:39]
	v_fma_f64 v[38:39], v[70:71], s[6:7], v[38:39]
	v_add_f64 v[66:67], v[19:20], -v[58:59]
	v_add_f64 v[68:69], v[88:89], -v[48:49]
	v_fma_f64 v[70:71], v[27:28], s[2:3], v[9:10]
	v_add_f64 v[9:10], v[21:22], v[82:83]
	v_fma_f64 v[27:28], v[27:28], s[2:3], v[50:51]
	ds_read_b64 v[50:51], v40
	v_add_f64 v[54:55], v[54:55], v[48:49]
	v_add_f64 v[48:49], v[58:59], -v[48:49]
	v_add_f64 v[19:20], v[19:20], -v[88:89]
	v_fma_f64 v[15:16], v[15:16], v[74:75], -v[76:77]
	s_waitcnt lgkmcnt(0)
	v_add_f64 v[92:93], v[50:51], v[78:79]
	v_fma_f64 v[9:10], v[9:10], -0.5, v[50:51]
	v_fma_f64 v[50:51], v[72:73], -0.5, v[50:51]
	v_add_f64 v[74:75], v[78:79], -v[21:22]
	v_add_f64 v[76:77], v[11:12], -v[82:83]
	v_fma_f64 v[56:57], v[52:53], s[4:5], v[56:57]
	v_add_f64 v[58:59], v[66:67], v[68:69]
	v_fma_f64 v[38:39], v[52:53], s[8:9], v[38:39]
	v_add_f64 v[52:53], v[92:93], v[21:22]
	v_fma_f64 v[68:69], v[48:49], s[14:15], v[9:10]
	v_fma_f64 v[9:10], v[48:49], s[6:7], v[9:10]
	;; [unrolled: 1-line block ×4, first 2 shown]
	v_add_f64 v[66:67], v[74:75], v[76:77]
	v_add_f64 v[21:22], v[21:22], -v[78:79]
	v_add_f64 v[74:75], v[82:83], -v[11:12]
	v_add_f64 v[76:77], v[30:31], v[90:91]
	v_add_f64 v[52:53], v[52:53], v[82:83]
	v_fma_f64 v[68:69], v[19:20], s[8:9], v[68:69]
	v_fma_f64 v[9:10], v[19:20], s[4:5], v[9:10]
	;; [unrolled: 1-line block ×5, first 2 shown]
	v_add_f64 v[50:51], v[86:87], v[36:37]
	v_add_f64 v[21:22], v[21:22], v[74:75]
	v_fma_f64 v[72:73], v[76:77], -0.5, v[0:1]
	v_add_f64 v[74:75], v[80:81], -v[13:14]
	v_fma_f64 v[38:39], v[58:59], s[2:3], v[38:39]
	v_add_f64 v[52:53], v[52:53], v[11:12]
	v_fma_f64 v[58:59], v[66:67], s[2:3], v[68:69]
	v_add_f64 v[11:12], v[17:18], -v[84:85]
	v_add_f64 v[68:69], v[86:87], -v[30:31]
	v_fma_f64 v[50:51], v[50:51], -0.5, v[0:1]
	v_add_f64 v[76:77], v[36:37], -v[90:91]
	v_add_f64 v[78:79], v[30:31], -v[86:87]
	;; [unrolled: 1-line block ×3, first 2 shown]
	v_fma_f64 v[66:67], v[66:67], s[2:3], v[9:10]
	v_fma_f64 v[9:10], v[74:75], s[6:7], v[72:73]
	;; [unrolled: 1-line block ×3, first 2 shown]
	v_add_f64 v[0:1], v[0:1], v[86:87]
	v_fma_f64 v[88:89], v[11:12], s[14:15], v[50:51]
	v_fma_f64 v[50:51], v[11:12], s[6:7], v[50:51]
	v_add_f64 v[68:69], v[68:69], v[76:77]
	v_add_f64 v[76:77], v[78:79], v[82:83]
	;; [unrolled: 1-line block ×3, first 2 shown]
	v_fma_f64 v[56:57], v[21:22], s[2:3], v[56:57]
	v_fma_f64 v[48:49], v[21:22], s[2:3], v[48:49]
	;; [unrolled: 1-line block ×4, first 2 shown]
	ds_read2_b64 v[9:12], v41 offset0:25 offset1:50
	v_add_f64 v[0:1], v[0:1], v[30:31]
	v_fma_f64 v[82:83], v[74:75], s[4:5], v[88:89]
	v_fma_f64 v[50:51], v[74:75], s[8:9], v[50:51]
	v_add_f64 v[86:87], v[86:87], -v[36:37]
	s_waitcnt lgkmcnt(0)
	v_add_f64 v[74:75], v[9:10], v[80:81]
	v_fma_f64 v[78:79], v[78:79], -0.5, v[9:10]
	v_add_f64 v[88:89], v[80:81], v[13:14]
	v_fma_f64 v[21:22], v[68:69], s[2:3], v[21:22]
	v_add_f64 v[0:1], v[0:1], v[90:91]
	v_add_f64 v[92:93], v[80:81], -v[17:18]
	v_add_f64 v[94:95], v[13:14], -v[84:85]
	v_fma_f64 v[68:69], v[68:69], s[2:3], v[72:73]
	v_fma_f64 v[72:73], v[76:77], s[2:3], v[82:83]
	v_add_f64 v[74:75], v[74:75], v[17:18]
	v_add_f64 v[30:31], v[30:31], -v[90:91]
	v_fma_f64 v[82:83], v[86:87], s[14:15], v[78:79]
	v_fma_f64 v[9:10], v[88:89], -0.5, v[9:10]
	v_fma_f64 v[50:51], v[76:77], s[2:3], v[50:51]
	v_add_f64 v[76:77], v[92:93], v[94:95]
	v_add_f64 v[17:18], v[17:18], -v[80:81]
	v_fma_f64 v[78:79], v[86:87], s[6:7], v[78:79]
	v_add_f64 v[74:75], v[74:75], v[84:85]
	v_add_f64 v[80:81], v[84:85], -v[13:14]
	v_fma_f64 v[82:83], v[30:31], s[8:9], v[82:83]
	v_fma_f64 v[84:85], v[30:31], s[6:7], v[9:10]
	v_add_f64 v[0:1], v[0:1], v[36:37]
	v_fma_f64 v[9:10], v[30:31], s[14:15], v[9:10]
	v_add_f64 v[36:37], v[32:33], v[23:24]
	;; [unrolled: 2-line block ×3, first 2 shown]
	v_add_f64 v[13:14], v[17:18], v[80:81]
	v_fma_f64 v[78:79], v[76:77], s[2:3], v[82:83]
	v_fma_f64 v[17:18], v[86:87], s[8:9], v[84:85]
	v_add_f64 v[80:81], v[6:7], v[25:26]
	v_fma_f64 v[9:10], v[86:87], s[4:5], v[9:10]
	v_fma_f64 v[36:37], v[36:37], -0.5, v[2:3]
	v_add_f64 v[82:83], v[4:5], -v[15:16]
	v_fma_f64 v[76:77], v[76:77], s[2:3], v[30:31]
	v_add_f64 v[30:31], v[6:7], -v[32:33]
	v_add_f64 v[84:85], v[25:26], -v[23:24]
	v_fma_f64 v[86:87], v[13:14], s[2:3], v[17:18]
	v_fma_f64 v[17:18], v[80:81], -0.5, v[2:3]
	v_add_f64 v[80:81], v[34:35], -v[46:47]
	v_fma_f64 v[88:89], v[13:14], s[2:3], v[9:10]
	v_fma_f64 v[9:10], v[82:83], s[6:7], v[36:37]
	;; [unrolled: 1-line block ×3, first 2 shown]
	v_add_f64 v[2:3], v[2:3], v[6:7]
	v_add_f64 v[30:31], v[30:31], v[84:85]
	v_add_f64 v[36:37], v[32:33], -v[6:7]
	v_add_f64 v[84:85], v[23:24], -v[25:26]
	v_fma_f64 v[90:91], v[80:81], s[14:15], v[17:18]
	v_add_f64 v[92:93], v[34:35], v[46:47]
	v_fma_f64 v[9:10], v[80:81], s[4:5], v[9:10]
	v_fma_f64 v[13:14], v[80:81], s[8:9], v[13:14]
	;; [unrolled: 1-line block ×3, first 2 shown]
	v_add_f64 v[80:81], v[4:5], v[15:16]
	v_add_f64 v[2:3], v[2:3], v[32:33]
	;; [unrolled: 1-line block ×3, first 2 shown]
	v_fma_f64 v[84:85], v[82:83], s[4:5], v[90:91]
	v_fma_f64 v[90:91], v[92:93], -0.5, v[11:12]
	v_add_f64 v[92:93], v[11:12], v[4:5]
	v_add_f64 v[6:7], v[6:7], -v[25:26]
	v_fma_f64 v[17:18], v[82:83], s[8:9], v[17:18]
	v_fma_f64 v[11:12], v[80:81], -0.5, v[11:12]
	v_add_f64 v[2:3], v[2:3], v[23:24]
	v_add_f64 v[23:24], v[32:33], -v[23:24]
	v_add_f64 v[32:33], v[4:5], -v[34:35]
	;; [unrolled: 1-line block ×3, first 2 shown]
	v_add_f64 v[82:83], v[92:93], v[34:35]
	v_fma_f64 v[92:93], v[6:7], s[14:15], v[90:91]
	v_fma_f64 v[90:91], v[6:7], s[6:7], v[90:91]
	v_add_f64 v[4:5], v[34:35], -v[4:5]
	v_add_f64 v[34:35], v[46:47], -v[15:16]
	v_fma_f64 v[94:95], v[23:24], s[6:7], v[11:12]
	v_fma_f64 v[11:12], v[23:24], s[14:15], v[11:12]
	v_add_f64 v[2:3], v[2:3], v[25:26]
	v_add_f64 v[25:26], v[32:33], v[80:81]
	v_fma_f64 v[32:33], v[23:24], s[8:9], v[92:93]
	v_fma_f64 v[23:24], v[23:24], s[4:5], v[90:91]
	v_add_f64 v[46:47], v[82:83], v[46:47]
	v_add_f64 v[4:5], v[4:5], v[34:35]
	v_fma_f64 v[34:35], v[6:7], s[8:9], v[94:95]
	v_fma_f64 v[6:7], v[6:7], s[4:5], v[11:12]
	;; [unrolled: 1-line block ×6, first 2 shown]
	s_barrier
	ds_write2_b64 v41, v[54:55], v[70:71] offset1:25
	ds_write2_b64 v41, v[19:20], v[38:39] offset0:50 offset1:75
	ds_write2_b64 v41, v[27:28], v[0:1] offset0:100 offset1:125
	;; [unrolled: 1-line block ×4, first 2 shown]
	v_lshl_add_u32 v28, v8, 3, v44
	v_add_u32_e32 v38, 0x400, v28
	v_add_u32_e32 v39, 0x800, v28
	v_add_f64 v[36:37], v[46:47], v[15:16]
	v_fma_f64 v[32:33], v[25:26], s[2:3], v[32:33]
	v_fma_f64 v[46:47], v[25:26], s[2:3], v[23:24]
	;; [unrolled: 1-line block ×4, first 2 shown]
	ds_write2_b64 v38, v[2:3], v[9:10] offset0:122 offset1:147
	ds_write2_b64 v39, v[13:14], v[17:18] offset0:44 offset1:69
	ds_write_b64 v28, v[11:12] offset:2800
	s_waitcnt lgkmcnt(0)
	s_barrier
	ds_read_b64 v[30:31], v40
	ds_read2_b64 v[4:7], v41 offset0:125 offset1:150
	ds_read2_b64 v[8:11], v41 offset0:225 offset1:250
	;; [unrolled: 1-line block ×7, first 2 shown]
	s_movk_i32 s4, 0x177
	s_waitcnt lgkmcnt(0)
	s_barrier
	ds_write2_b64 v41, v[52:53], v[58:59] offset1:25
	ds_write2_b64 v41, v[56:57], v[48:49] offset0:50 offset1:75
	ds_write2_b64 v41, v[66:67], v[74:75] offset0:100 offset1:125
	;; [unrolled: 1-line block ×6, first 2 shown]
	ds_write_b64 v28, v[46:47] offset:2800
	s_waitcnt lgkmcnt(0)
	s_barrier
	s_and_saveexec_b64 s[0:1], vcc
	s_cbranch_execz .LBB0_14
; %bb.13:
	v_lshlrev_b32_e32 v44, 1, v65
	v_add_u32_e32 v28, 0xc8, v44
	v_lshlrev_b64 v[32:33], 4, v[28:29]
	v_mov_b32_e32 v64, s13
	v_add_co_u32_e32 v46, vcc, s12, v32
	v_addc_co_u32_e32 v47, vcc, v64, v33, vcc
	v_add_u32_e32 v28, 0x96, v44
	global_load_dwordx4 v[32:35], v[46:47], off offset:1936
	global_load_dwordx4 v[36:39], v[46:47], off offset:1920
	v_lshlrev_b64 v[46:47], 4, v[28:29]
	v_lshlrev_b32_e32 v28, 1, v45
	v_add_co_u32_e32 v54, vcc, s12, v46
	v_addc_co_u32_e32 v55, vcc, v64, v47, vcc
	global_load_dwordx4 v[46:49], v[54:55], off offset:1936
	global_load_dwordx4 v[50:53], v[54:55], off offset:1920
	v_lshlrev_b64 v[54:55], 4, v[28:29]
	v_lshlrev_b32_e32 v28, 1, v43
	v_add_co_u32_e32 v58, vcc, s12, v54
	v_addc_co_u32_e32 v59, vcc, v64, v55, vcc
	global_load_dwordx4 v[54:57], v[58:59], off offset:1920
	global_load_dwordx4 v[66:69], v[58:59], off offset:1936
	v_lshlrev_b64 v[58:59], 4, v[28:29]
	v_mov_b32_e32 v45, v29
	v_add_co_u32_e32 v58, vcc, s12, v58
	v_addc_co_u32_e32 v59, vcc, v64, v59, vcc
	global_load_dwordx4 v[70:73], v[58:59], off offset:1920
	global_load_dwordx4 v[74:77], v[58:59], off offset:1936
	v_lshlrev_b64 v[43:44], 4, v[44:45]
	v_mul_lo_u32 v28, s17, v62
	v_add_co_u32_e32 v43, vcc, s12, v43
	v_addc_co_u32_e32 v44, vcc, v64, v44, vcc
	global_load_dwordx4 v[78:81], v[43:44], off offset:1936
	global_load_dwordx4 v[82:85], v[43:44], off offset:1920
	ds_read2_b64 v[86:89], v41 offset0:75 offset1:100
	ds_read2_b64 v[90:93], v41 offset0:225 offset1:250
	;; [unrolled: 1-line block ×3, first 2 shown]
	v_mul_lo_u32 v58, s16, v63
	v_mad_u64_u32 v[62:63], s[0:1], s16, v62, 0
	ds_read2_b64 v[98:101], v41 offset0:175 offset1:200
	ds_read2_b64 v[102:105], v41 offset0:25 offset1:50
	ds_read2_b64 v[42:45], v42 offset0:19 offset1:44
	ds_read2_b64 v[106:109], v41 offset0:125 offset1:150
	s_mov_b32 s0, 0xe8584caa
	v_add3_u32 v63, v63, v58, v28
	s_mov_b32 s1, 0xbfebb67a
	s_mov_b32 s3, 0x3febb67a
	;; [unrolled: 1-line block ×4, first 2 shown]
	v_mul_hi_u32 v28, v65, s5
	s_movk_i32 s6, 0x7d
	v_lshrrev_b32_e32 v28, 3, v28
	v_mul_lo_u32 v28, v28, s6
	s_waitcnt vmcnt(9)
	v_mul_f64 v[110:111], v[26:27], v[34:35]
	s_waitcnt vmcnt(8)
	v_mul_f64 v[58:59], v[8:9], v[38:39]
	s_waitcnt lgkmcnt(5)
	v_mul_f64 v[38:39], v[90:91], v[38:39]
	s_waitcnt lgkmcnt(4)
	v_mul_f64 v[34:35], v[96:97], v[34:35]
	s_waitcnt vmcnt(7)
	v_mul_f64 v[114:115], v[24:25], v[48:49]
	s_waitcnt vmcnt(6)
	v_mul_f64 v[112:113], v[22:23], v[52:53]
	s_waitcnt lgkmcnt(3)
	v_mul_f64 v[52:53], v[100:101], v[52:53]
	v_mul_f64 v[48:49], v[94:95], v[48:49]
	v_fma_f64 v[58:59], v[90:91], v[36:37], -v[58:59]
	v_fma_f64 v[8:9], v[8:9], v[36:37], v[38:39]
	v_fma_f64 v[26:27], v[26:27], v[32:33], v[34:35]
	s_waitcnt vmcnt(5)
	v_mul_f64 v[116:117], v[20:21], v[56:57]
	s_waitcnt vmcnt(4)
	v_mul_f64 v[36:37], v[14:15], v[68:69]
	v_mul_f64 v[38:39], v[98:99], v[56:57]
	v_fma_f64 v[56:57], v[96:97], v[32:33], -v[110:111]
	s_waitcnt lgkmcnt(1)
	v_mul_f64 v[32:33], v[44:45], v[68:69]
	v_fma_f64 v[34:35], v[94:95], v[46:47], -v[114:115]
	v_fma_f64 v[94:95], v[100:101], v[50:51], -v[112:113]
	v_fma_f64 v[22:23], v[22:23], v[50:51], v[52:53]
	v_fma_f64 v[46:47], v[24:25], v[46:47], v[48:49]
	v_fma_f64 v[24:25], v[98:99], v[54:55], -v[116:117]
	v_fma_f64 v[48:49], v[44:45], v[66:67], -v[36:37]
	v_fma_f64 v[52:53], v[20:21], v[54:55], v[38:39]
	v_fma_f64 v[66:67], v[14:15], v[66:67], v[32:33]
	v_add_f64 v[14:15], v[58:59], v[56:57]
	v_add_f64 v[32:33], v[8:9], -v[26:27]
	v_add_f64 v[20:21], v[88:89], v[58:59]
	v_add_f64 v[36:37], v[58:59], -v[56:57]
	v_add_f64 v[38:39], v[8:9], v[26:27]
	v_add_f64 v[8:9], v[18:19], v[8:9]
	;; [unrolled: 1-line block ×4, first 2 shown]
	v_add_f64 v[58:59], v[94:95], -v[34:35]
	v_add_f64 v[94:95], v[22:23], v[46:47]
	s_waitcnt vmcnt(3)
	v_mul_f64 v[68:69], v[6:7], v[72:73]
	s_waitcnt vmcnt(2)
	v_mul_f64 v[90:91], v[12:13], v[76:77]
	v_fma_f64 v[14:15], v[14:15], -0.5, v[88:89]
	v_fma_f64 v[38:39], v[38:39], -0.5, v[18:19]
	v_add_f64 v[18:19], v[8:9], v[26:27]
	v_add_f64 v[50:51], v[22:23], -v[46:47]
	v_add_f64 v[22:23], v[16:17], v[22:23]
	v_fma_f64 v[26:27], v[94:95], -0.5, v[16:17]
	v_add_f64 v[96:97], v[24:25], v[48:49]
	v_add_f64 v[100:101], v[104:105], v[24:25]
	v_add_f64 v[110:111], v[24:25], -v[48:49]
	v_add_f64 v[112:113], v[52:53], v[66:67]
	v_add_f64 v[20:21], v[20:21], v[56:57]
	v_fma_f64 v[8:9], v[44:45], -0.5, v[86:87]
	v_add_f64 v[24:25], v[54:55], v[34:35]
	v_fma_f64 v[16:17], v[32:33], s[0:1], v[14:15]
	v_fma_f64 v[34:35], v[32:33], s[2:3], v[14:15]
	;; [unrolled: 1-line block ×6, first 2 shown]
	s_waitcnt lgkmcnt(0)
	v_fma_f64 v[56:57], v[108:109], v[70:71], -v[68:69]
	v_fma_f64 v[58:59], v[42:43], v[74:75], -v[90:91]
	v_mul_f64 v[68:69], v[108:109], v[72:73]
	v_mul_f64 v[41:42], v[42:43], v[76:77]
	v_add_f64 v[98:99], v[52:53], -v[66:67]
	v_fma_f64 v[54:55], v[96:97], -0.5, v[104:105]
	v_fma_f64 v[26:27], v[112:113], -0.5, v[2:3]
	s_waitcnt vmcnt(1)
	v_mul_f64 v[76:77], v[10:11], v[80:81]
	v_add_f64 v[2:3], v[2:3], v[52:53]
	v_add_f64 v[86:87], v[56:57], v[58:59]
	v_fma_f64 v[68:69], v[6:7], v[70:71], v[68:69]
	v_fma_f64 v[70:71], v[12:13], v[74:75], v[41:42]
	s_waitcnt vmcnt(0)
	v_mul_f64 v[12:13], v[106:107], v[84:85]
	v_mul_f64 v[41:42], v[92:93], v[80:81]
	;; [unrolled: 1-line block ×3, first 2 shown]
	v_add_f64 v[22:23], v[22:23], v[46:47]
	v_fma_f64 v[38:39], v[50:51], s[0:1], v[8:9]
	v_fma_f64 v[46:47], v[50:51], s[2:3], v[8:9]
	;; [unrolled: 1-line block ×4, first 2 shown]
	v_add_f64 v[54:55], v[100:101], v[48:49]
	v_fma_f64 v[48:49], v[110:111], s[2:3], v[26:27]
	v_fma_f64 v[74:75], v[92:93], v[78:79], -v[76:77]
	v_fma_f64 v[6:7], v[110:111], s[0:1], v[26:27]
	v_add_f64 v[52:53], v[2:3], v[66:67]
	v_fma_f64 v[26:27], v[86:87], -0.5, v[102:103]
	v_add_f64 v[2:3], v[68:69], v[70:71]
	v_add_f64 v[66:67], v[68:69], -v[70:71]
	v_fma_f64 v[4:5], v[4:5], v[82:83], v[12:13]
	v_fma_f64 v[78:79], v[10:11], v[78:79], v[41:42]
	v_fma_f64 v[72:73], v[106:107], v[82:83], -v[72:73]
	v_add_f64 v[10:11], v[102:103], v[56:57]
	ds_read_b64 v[80:81], v40
	v_add_f64 v[40:41], v[56:57], -v[58:59]
	v_fma_f64 v[56:57], v[2:3], -0.5, v[0:1]
	v_fma_f64 v[2:3], v[66:67], s[0:1], v[26:27]
	v_fma_f64 v[12:13], v[66:67], s[2:3], v[26:27]
	v_add_f64 v[26:27], v[4:5], v[78:79]
	v_add_f64 v[76:77], v[72:73], v[74:75]
	;; [unrolled: 1-line block ×3, first 2 shown]
	v_add_f64 v[82:83], v[4:5], -v[78:79]
	v_add_f64 v[4:5], v[30:31], v[4:5]
	v_add_f64 v[42:43], v[10:11], v[58:59]
	v_fma_f64 v[0:1], v[40:41], s[2:3], v[56:57]
	v_fma_f64 v[10:11], v[40:41], s[0:1], v[56:57]
	s_waitcnt lgkmcnt(0)
	v_add_f64 v[56:57], v[80:81], v[72:73]
	v_add_f64 v[66:67], v[72:73], -v[74:75]
	v_fma_f64 v[26:27], v[26:27], -0.5, v[30:31]
	v_fma_f64 v[76:77], v[76:77], -0.5, v[80:81]
	v_add_f64 v[40:41], v[68:69], v[70:71]
	v_add_f64 v[70:71], v[4:5], v[78:79]
	v_lshlrev_b64 v[4:5], 4, v[62:63]
	v_add_u32_e32 v30, 25, v65
	v_add_f64 v[72:73], v[56:57], v[74:75]
	v_mul_hi_u32 v31, v30, s5
	v_fma_f64 v[56:57], v[66:67], s[2:3], v[26:27]
	v_fma_f64 v[66:67], v[66:67], s[0:1], v[26:27]
	v_sub_u32_e32 v26, v65, v28
	v_mov_b32_e32 v27, s11
	v_add_co_u32_e32 v28, vcc, s10, v4
	v_addc_co_u32_e32 v27, vcc, v27, v5, vcc
	v_lshlrev_b64 v[4:5], 4, v[60:61]
	v_fma_f64 v[68:69], v[82:83], s[2:3], v[76:77]
	v_add_co_u32_e32 v60, vcc, v28, v4
	v_addc_co_u32_e32 v61, vcc, v27, v5, vcc
	v_lshrrev_b32_e32 v27, 3, v31
	v_lshlrev_b32_e32 v4, 4, v26
	v_mul_lo_u32 v26, v27, s6
	v_fma_f64 v[58:59], v[82:83], s[0:1], v[76:77]
	v_add_co_u32_e32 v4, vcc, v60, v4
	v_sub_u32_e32 v26, v30, v26
	v_mad_u64_u32 v[26:27], s[0:1], v27, s4, v[26:27]
	v_addc_co_u32_e32 v5, vcc, 0, v61, vcc
	v_mov_b32_e32 v27, v29
	global_store_dwordx4 v[4:5], v[70:73], off
	global_store_dwordx4 v[4:5], v[66:69], off offset:2000
	global_store_dwordx4 v[4:5], v[56:59], off offset:4000
	v_lshlrev_b64 v[4:5], 4, v[26:27]
	v_add_u32_e32 v28, 0x7d, v26
	v_add_co_u32_e32 v4, vcc, v60, v4
	v_addc_co_u32_e32 v5, vcc, v61, v5, vcc
	v_add_u32_e32 v27, 50, v65
	global_store_dwordx4 v[4:5], v[40:43], off
	v_lshlrev_b64 v[4:5], 4, v[28:29]
	v_mul_hi_u32 v28, v27, s5
	v_add_co_u32_e32 v4, vcc, v60, v4
	v_addc_co_u32_e32 v5, vcc, v61, v5, vcc
	v_lshrrev_b32_e32 v30, 3, v28
	v_mul_lo_u32 v31, v30, s6
	v_add_u32_e32 v28, 0xfa, v26
	global_store_dwordx4 v[4:5], v[10:13], off
	v_lshlrev_b64 v[4:5], 4, v[28:29]
	v_sub_u32_e32 v10, v27, v31
	v_add_co_u32_e32 v4, vcc, v60, v4
	v_mad_u64_u32 v[10:11], s[0:1], v30, s4, v[10:11]
	v_addc_co_u32_e32 v5, vcc, v61, v5, vcc
	global_store_dwordx4 v[4:5], v[0:3], off
	v_mov_b32_e32 v11, v29
	v_add_u32_e32 v2, 0x4b, v65
	v_mul_hi_u32 v3, v2, s5
	v_lshlrev_b64 v[0:1], 4, v[10:11]
	v_add_u32_e32 v28, 0x7d, v10
	v_add_co_u32_e32 v0, vcc, v60, v0
	v_lshrrev_b32_e32 v3, 3, v3
	v_addc_co_u32_e32 v1, vcc, v61, v1, vcc
	v_mul_lo_u32 v4, v3, s6
	global_store_dwordx4 v[0:1], v[52:55], off
	v_lshlrev_b64 v[0:1], 4, v[28:29]
	v_add_u32_e32 v28, 0xfa, v10
	v_add_co_u32_e32 v0, vcc, v60, v0
	v_addc_co_u32_e32 v1, vcc, v61, v1, vcc
	v_sub_u32_e32 v2, v2, v4
	global_store_dwordx4 v[0:1], v[6:9], off
	v_lshlrev_b64 v[0:1], 4, v[28:29]
	v_mad_u64_u32 v[2:3], s[0:1], v3, s4, v[2:3]
	v_add_co_u32_e32 v0, vcc, v60, v0
	v_addc_co_u32_e32 v1, vcc, v61, v1, vcc
	v_mov_b32_e32 v3, v29
	global_store_dwordx4 v[0:1], v[48:51], off
	v_lshlrev_b64 v[0:1], 4, v[2:3]
	v_add_u32_e32 v3, 0x64, v65
	v_mul_hi_u32 v4, v3, s5
	v_add_co_u32_e32 v0, vcc, v60, v0
	v_addc_co_u32_e32 v1, vcc, v61, v1, vcc
	v_lshrrev_b32_e32 v4, 3, v4
	v_add_u32_e32 v28, 0x7d, v2
	v_mul_lo_u32 v5, v4, s6
	global_store_dwordx4 v[0:1], v[22:25], off
	v_lshlrev_b64 v[0:1], 4, v[28:29]
	v_add_u32_e32 v28, 0xfa, v2
	v_add_co_u32_e32 v0, vcc, v60, v0
	v_addc_co_u32_e32 v1, vcc, v61, v1, vcc
	v_sub_u32_e32 v2, v3, v5
	global_store_dwordx4 v[0:1], v[44:47], off
	v_lshlrev_b64 v[0:1], 4, v[28:29]
	v_mad_u64_u32 v[2:3], s[0:1], v4, s4, v[2:3]
	v_add_co_u32_e32 v0, vcc, v60, v0
	v_addc_co_u32_e32 v1, vcc, v61, v1, vcc
	v_mov_b32_e32 v3, v29
	global_store_dwordx4 v[0:1], v[36:39], off
	v_lshlrev_b64 v[0:1], 4, v[2:3]
	v_add_u32_e32 v28, 0x7d, v2
	v_add_co_u32_e32 v0, vcc, v60, v0
	v_addc_co_u32_e32 v1, vcc, v61, v1, vcc
	global_store_dwordx4 v[0:1], v[18:21], off
	v_lshlrev_b64 v[0:1], 4, v[28:29]
	v_add_u32_e32 v28, 0xfa, v2
	v_add_co_u32_e32 v0, vcc, v60, v0
	v_addc_co_u32_e32 v1, vcc, v61, v1, vcc
	global_store_dwordx4 v[0:1], v[32:35], off
	v_lshlrev_b64 v[0:1], 4, v[28:29]
	v_add_co_u32_e32 v0, vcc, v60, v0
	v_addc_co_u32_e32 v1, vcc, v61, v1, vcc
	global_store_dwordx4 v[0:1], v[14:17], off
.LBB0_14:
	s_endpgm
	.section	.rodata,"a",@progbits
	.p2align	6, 0x0
	.amdhsa_kernel fft_rtc_back_len375_factors_5_5_5_3_wgs_125_tpt_25_halfLds_dp_op_CI_CI_unitstride_sbrr_dirReg
		.amdhsa_group_segment_fixed_size 0
		.amdhsa_private_segment_fixed_size 0
		.amdhsa_kernarg_size 104
		.amdhsa_user_sgpr_count 6
		.amdhsa_user_sgpr_private_segment_buffer 1
		.amdhsa_user_sgpr_dispatch_ptr 0
		.amdhsa_user_sgpr_queue_ptr 0
		.amdhsa_user_sgpr_kernarg_segment_ptr 1
		.amdhsa_user_sgpr_dispatch_id 0
		.amdhsa_user_sgpr_flat_scratch_init 0
		.amdhsa_user_sgpr_private_segment_size 0
		.amdhsa_uses_dynamic_stack 0
		.amdhsa_system_sgpr_private_segment_wavefront_offset 0
		.amdhsa_system_sgpr_workgroup_id_x 1
		.amdhsa_system_sgpr_workgroup_id_y 0
		.amdhsa_system_sgpr_workgroup_id_z 0
		.amdhsa_system_sgpr_workgroup_info 0
		.amdhsa_system_vgpr_workitem_id 0
		.amdhsa_next_free_vgpr 118
		.amdhsa_next_free_sgpr 28
		.amdhsa_reserve_vcc 1
		.amdhsa_reserve_flat_scratch 0
		.amdhsa_float_round_mode_32 0
		.amdhsa_float_round_mode_16_64 0
		.amdhsa_float_denorm_mode_32 3
		.amdhsa_float_denorm_mode_16_64 3
		.amdhsa_dx10_clamp 1
		.amdhsa_ieee_mode 1
		.amdhsa_fp16_overflow 0
		.amdhsa_exception_fp_ieee_invalid_op 0
		.amdhsa_exception_fp_denorm_src 0
		.amdhsa_exception_fp_ieee_div_zero 0
		.amdhsa_exception_fp_ieee_overflow 0
		.amdhsa_exception_fp_ieee_underflow 0
		.amdhsa_exception_fp_ieee_inexact 0
		.amdhsa_exception_int_div_zero 0
	.end_amdhsa_kernel
	.text
.Lfunc_end0:
	.size	fft_rtc_back_len375_factors_5_5_5_3_wgs_125_tpt_25_halfLds_dp_op_CI_CI_unitstride_sbrr_dirReg, .Lfunc_end0-fft_rtc_back_len375_factors_5_5_5_3_wgs_125_tpt_25_halfLds_dp_op_CI_CI_unitstride_sbrr_dirReg
                                        ; -- End function
	.section	.AMDGPU.csdata,"",@progbits
; Kernel info:
; codeLenInByte = 9708
; NumSgprs: 32
; NumVgprs: 118
; ScratchSize: 0
; MemoryBound: 1
; FloatMode: 240
; IeeeMode: 1
; LDSByteSize: 0 bytes/workgroup (compile time only)
; SGPRBlocks: 3
; VGPRBlocks: 29
; NumSGPRsForWavesPerEU: 32
; NumVGPRsForWavesPerEU: 118
; Occupancy: 2
; WaveLimiterHint : 1
; COMPUTE_PGM_RSRC2:SCRATCH_EN: 0
; COMPUTE_PGM_RSRC2:USER_SGPR: 6
; COMPUTE_PGM_RSRC2:TRAP_HANDLER: 0
; COMPUTE_PGM_RSRC2:TGID_X_EN: 1
; COMPUTE_PGM_RSRC2:TGID_Y_EN: 0
; COMPUTE_PGM_RSRC2:TGID_Z_EN: 0
; COMPUTE_PGM_RSRC2:TIDIG_COMP_CNT: 0
	.type	__hip_cuid_c6a9cf472f9778ef,@object ; @__hip_cuid_c6a9cf472f9778ef
	.section	.bss,"aw",@nobits
	.globl	__hip_cuid_c6a9cf472f9778ef
__hip_cuid_c6a9cf472f9778ef:
	.byte	0                               ; 0x0
	.size	__hip_cuid_c6a9cf472f9778ef, 1

	.ident	"AMD clang version 19.0.0git (https://github.com/RadeonOpenCompute/llvm-project roc-6.4.0 25133 c7fe45cf4b819c5991fe208aaa96edf142730f1d)"
	.section	".note.GNU-stack","",@progbits
	.addrsig
	.addrsig_sym __hip_cuid_c6a9cf472f9778ef
	.amdgpu_metadata
---
amdhsa.kernels:
  - .args:
      - .actual_access:  read_only
        .address_space:  global
        .offset:         0
        .size:           8
        .value_kind:     global_buffer
      - .offset:         8
        .size:           8
        .value_kind:     by_value
      - .actual_access:  read_only
        .address_space:  global
        .offset:         16
        .size:           8
        .value_kind:     global_buffer
      - .actual_access:  read_only
        .address_space:  global
        .offset:         24
        .size:           8
        .value_kind:     global_buffer
      - .actual_access:  read_only
        .address_space:  global
        .offset:         32
        .size:           8
        .value_kind:     global_buffer
      - .offset:         40
        .size:           8
        .value_kind:     by_value
      - .actual_access:  read_only
        .address_space:  global
        .offset:         48
        .size:           8
        .value_kind:     global_buffer
      - .actual_access:  read_only
        .address_space:  global
        .offset:         56
        .size:           8
        .value_kind:     global_buffer
      - .offset:         64
        .size:           4
        .value_kind:     by_value
      - .actual_access:  read_only
        .address_space:  global
        .offset:         72
        .size:           8
        .value_kind:     global_buffer
      - .actual_access:  read_only
        .address_space:  global
        .offset:         80
        .size:           8
        .value_kind:     global_buffer
      - .actual_access:  read_only
        .address_space:  global
        .offset:         88
        .size:           8
        .value_kind:     global_buffer
      - .actual_access:  write_only
        .address_space:  global
        .offset:         96
        .size:           8
        .value_kind:     global_buffer
    .group_segment_fixed_size: 0
    .kernarg_segment_align: 8
    .kernarg_segment_size: 104
    .language:       OpenCL C
    .language_version:
      - 2
      - 0
    .max_flat_workgroup_size: 125
    .name:           fft_rtc_back_len375_factors_5_5_5_3_wgs_125_tpt_25_halfLds_dp_op_CI_CI_unitstride_sbrr_dirReg
    .private_segment_fixed_size: 0
    .sgpr_count:     32
    .sgpr_spill_count: 0
    .symbol:         fft_rtc_back_len375_factors_5_5_5_3_wgs_125_tpt_25_halfLds_dp_op_CI_CI_unitstride_sbrr_dirReg.kd
    .uniform_work_group_size: 1
    .uses_dynamic_stack: false
    .vgpr_count:     118
    .vgpr_spill_count: 0
    .wavefront_size: 64
amdhsa.target:   amdgcn-amd-amdhsa--gfx906
amdhsa.version:
  - 1
  - 2
...

	.end_amdgpu_metadata
